;; amdgpu-corpus repo=ROCm/rocFFT kind=compiled arch=gfx1201 opt=O3
	.text
	.amdgcn_target "amdgcn-amd-amdhsa--gfx1201"
	.amdhsa_code_object_version 6
	.protected	fft_rtc_back_len1500_factors_5_10_10_3_wgs_150_tpt_150_halfLds_dp_op_CI_CI_unitstride_sbrr_R2C_dirReg ; -- Begin function fft_rtc_back_len1500_factors_5_10_10_3_wgs_150_tpt_150_halfLds_dp_op_CI_CI_unitstride_sbrr_R2C_dirReg
	.globl	fft_rtc_back_len1500_factors_5_10_10_3_wgs_150_tpt_150_halfLds_dp_op_CI_CI_unitstride_sbrr_R2C_dirReg
	.p2align	8
	.type	fft_rtc_back_len1500_factors_5_10_10_3_wgs_150_tpt_150_halfLds_dp_op_CI_CI_unitstride_sbrr_R2C_dirReg,@function
fft_rtc_back_len1500_factors_5_10_10_3_wgs_150_tpt_150_halfLds_dp_op_CI_CI_unitstride_sbrr_R2C_dirReg: ; @fft_rtc_back_len1500_factors_5_10_10_3_wgs_150_tpt_150_halfLds_dp_op_CI_CI_unitstride_sbrr_R2C_dirReg
; %bb.0:
	s_clause 0x2
	s_load_b128 s[8:11], s[0:1], 0x0
	s_load_b128 s[4:7], s[0:1], 0x58
	;; [unrolled: 1-line block ×3, first 2 shown]
	v_mul_u32_u24_e32 v1, 0x1b5, v0
	v_mov_b32_e32 v3, 0
	s_delay_alu instid0(VALU_DEP_2) | instskip(NEXT) | instid1(VALU_DEP_1)
	v_lshrrev_b32_e32 v1, 16, v1
	v_add_nc_u32_e32 v5, ttmp9, v1
	v_mov_b32_e32 v1, 0
	v_mov_b32_e32 v2, 0
	;; [unrolled: 1-line block ×3, first 2 shown]
	s_wait_kmcnt 0x0
	v_cmp_lt_u64_e64 s2, s[10:11], 2
	s_delay_alu instid0(VALU_DEP_1)
	s_and_b32 vcc_lo, exec_lo, s2
	s_cbranch_vccnz .LBB0_8
; %bb.1:
	s_load_b64 s[2:3], s[0:1], 0x10
	v_mov_b32_e32 v1, 0
	v_mov_b32_e32 v2, 0
	s_add_nc_u64 s[16:17], s[14:15], 8
	s_add_nc_u64 s[18:19], s[12:13], 8
	s_mov_b64 s[20:21], 1
	s_delay_alu instid0(VALU_DEP_1)
	v_dual_mov_b32 v49, v2 :: v_dual_mov_b32 v48, v1
	s_wait_kmcnt 0x0
	s_add_nc_u64 s[22:23], s[2:3], 8
	s_mov_b32 s3, 0
.LBB0_2:                                ; =>This Inner Loop Header: Depth=1
	s_load_b64 s[24:25], s[22:23], 0x0
                                        ; implicit-def: $vgpr52_vgpr53
	s_mov_b32 s2, exec_lo
	s_wait_kmcnt 0x0
	v_or_b32_e32 v4, s25, v6
	s_delay_alu instid0(VALU_DEP_1)
	v_cmpx_ne_u64_e32 0, v[3:4]
	s_wait_alu 0xfffe
	s_xor_b32 s26, exec_lo, s2
	s_cbranch_execz .LBB0_4
; %bb.3:                                ;   in Loop: Header=BB0_2 Depth=1
	s_cvt_f32_u32 s2, s24
	s_cvt_f32_u32 s27, s25
	s_sub_nc_u64 s[30:31], 0, s[24:25]
	s_wait_alu 0xfffe
	s_delay_alu instid0(SALU_CYCLE_1) | instskip(SKIP_1) | instid1(SALU_CYCLE_2)
	s_fmamk_f32 s2, s27, 0x4f800000, s2
	s_wait_alu 0xfffe
	v_s_rcp_f32 s2, s2
	s_delay_alu instid0(TRANS32_DEP_1) | instskip(SKIP_1) | instid1(SALU_CYCLE_2)
	s_mul_f32 s2, s2, 0x5f7ffffc
	s_wait_alu 0xfffe
	s_mul_f32 s27, s2, 0x2f800000
	s_wait_alu 0xfffe
	s_delay_alu instid0(SALU_CYCLE_2) | instskip(SKIP_1) | instid1(SALU_CYCLE_2)
	s_trunc_f32 s27, s27
	s_wait_alu 0xfffe
	s_fmamk_f32 s2, s27, 0xcf800000, s2
	s_cvt_u32_f32 s29, s27
	s_wait_alu 0xfffe
	s_delay_alu instid0(SALU_CYCLE_1) | instskip(SKIP_1) | instid1(SALU_CYCLE_2)
	s_cvt_u32_f32 s28, s2
	s_wait_alu 0xfffe
	s_mul_u64 s[34:35], s[30:31], s[28:29]
	s_wait_alu 0xfffe
	s_mul_hi_u32 s37, s28, s35
	s_mul_i32 s36, s28, s35
	s_mul_hi_u32 s2, s28, s34
	s_mul_i32 s33, s29, s34
	s_wait_alu 0xfffe
	s_add_nc_u64 s[36:37], s[2:3], s[36:37]
	s_mul_hi_u32 s27, s29, s34
	s_mul_hi_u32 s38, s29, s35
	s_add_co_u32 s2, s36, s33
	s_wait_alu 0xfffe
	s_add_co_ci_u32 s2, s37, s27
	s_mul_i32 s34, s29, s35
	s_add_co_ci_u32 s35, s38, 0
	s_wait_alu 0xfffe
	s_add_nc_u64 s[34:35], s[2:3], s[34:35]
	s_wait_alu 0xfffe
	v_add_co_u32 v4, s2, s28, s34
	s_delay_alu instid0(VALU_DEP_1) | instskip(SKIP_1) | instid1(VALU_DEP_1)
	s_cmp_lg_u32 s2, 0
	s_add_co_ci_u32 s29, s29, s35
	v_readfirstlane_b32 s28, v4
	s_wait_alu 0xfffe
	s_delay_alu instid0(VALU_DEP_1)
	s_mul_u64 s[30:31], s[30:31], s[28:29]
	s_wait_alu 0xfffe
	s_mul_hi_u32 s35, s28, s31
	s_mul_i32 s34, s28, s31
	s_mul_hi_u32 s2, s28, s30
	s_mul_i32 s33, s29, s30
	s_wait_alu 0xfffe
	s_add_nc_u64 s[34:35], s[2:3], s[34:35]
	s_mul_hi_u32 s27, s29, s30
	s_mul_hi_u32 s28, s29, s31
	s_wait_alu 0xfffe
	s_add_co_u32 s2, s34, s33
	s_add_co_ci_u32 s2, s35, s27
	s_mul_i32 s30, s29, s31
	s_add_co_ci_u32 s31, s28, 0
	s_wait_alu 0xfffe
	s_add_nc_u64 s[30:31], s[2:3], s[30:31]
	s_wait_alu 0xfffe
	v_add_co_u32 v4, s2, v4, s30
	s_delay_alu instid0(VALU_DEP_1) | instskip(SKIP_1) | instid1(VALU_DEP_1)
	s_cmp_lg_u32 s2, 0
	s_add_co_ci_u32 s2, s29, s31
	v_mul_hi_u32 v13, v5, v4
	s_wait_alu 0xfffe
	v_mad_co_u64_u32 v[7:8], null, v5, s2, 0
	v_mad_co_u64_u32 v[9:10], null, v6, v4, 0
	;; [unrolled: 1-line block ×3, first 2 shown]
	s_delay_alu instid0(VALU_DEP_3) | instskip(SKIP_1) | instid1(VALU_DEP_4)
	v_add_co_u32 v4, vcc_lo, v13, v7
	s_wait_alu 0xfffd
	v_add_co_ci_u32_e32 v7, vcc_lo, 0, v8, vcc_lo
	s_delay_alu instid0(VALU_DEP_2) | instskip(SKIP_1) | instid1(VALU_DEP_2)
	v_add_co_u32 v4, vcc_lo, v4, v9
	s_wait_alu 0xfffd
	v_add_co_ci_u32_e32 v4, vcc_lo, v7, v10, vcc_lo
	s_wait_alu 0xfffd
	v_add_co_ci_u32_e32 v7, vcc_lo, 0, v12, vcc_lo
	s_delay_alu instid0(VALU_DEP_2) | instskip(SKIP_1) | instid1(VALU_DEP_2)
	v_add_co_u32 v4, vcc_lo, v4, v11
	s_wait_alu 0xfffd
	v_add_co_ci_u32_e32 v9, vcc_lo, 0, v7, vcc_lo
	s_delay_alu instid0(VALU_DEP_2) | instskip(SKIP_1) | instid1(VALU_DEP_3)
	v_mul_lo_u32 v10, s25, v4
	v_mad_co_u64_u32 v[7:8], null, s24, v4, 0
	v_mul_lo_u32 v11, s24, v9
	s_delay_alu instid0(VALU_DEP_2) | instskip(NEXT) | instid1(VALU_DEP_2)
	v_sub_co_u32 v7, vcc_lo, v5, v7
	v_add3_u32 v8, v8, v11, v10
	s_delay_alu instid0(VALU_DEP_1) | instskip(SKIP_1) | instid1(VALU_DEP_1)
	v_sub_nc_u32_e32 v10, v6, v8
	s_wait_alu 0xfffd
	v_subrev_co_ci_u32_e64 v10, s2, s25, v10, vcc_lo
	v_add_co_u32 v11, s2, v4, 2
	s_wait_alu 0xf1ff
	v_add_co_ci_u32_e64 v12, s2, 0, v9, s2
	v_sub_co_u32 v13, s2, v7, s24
	v_sub_co_ci_u32_e32 v8, vcc_lo, v6, v8, vcc_lo
	s_wait_alu 0xf1ff
	v_subrev_co_ci_u32_e64 v10, s2, 0, v10, s2
	s_delay_alu instid0(VALU_DEP_3) | instskip(NEXT) | instid1(VALU_DEP_3)
	v_cmp_le_u32_e32 vcc_lo, s24, v13
	v_cmp_eq_u32_e64 s2, s25, v8
	s_wait_alu 0xfffd
	v_cndmask_b32_e64 v13, 0, -1, vcc_lo
	v_cmp_le_u32_e32 vcc_lo, s25, v10
	s_wait_alu 0xfffd
	v_cndmask_b32_e64 v14, 0, -1, vcc_lo
	v_cmp_le_u32_e32 vcc_lo, s24, v7
	;; [unrolled: 3-line block ×3, first 2 shown]
	s_wait_alu 0xfffd
	v_cndmask_b32_e64 v15, 0, -1, vcc_lo
	v_cmp_eq_u32_e32 vcc_lo, s25, v10
	s_wait_alu 0xf1ff
	s_delay_alu instid0(VALU_DEP_2)
	v_cndmask_b32_e64 v7, v15, v7, s2
	s_wait_alu 0xfffd
	v_cndmask_b32_e32 v10, v14, v13, vcc_lo
	v_add_co_u32 v13, vcc_lo, v4, 1
	s_wait_alu 0xfffd
	v_add_co_ci_u32_e32 v14, vcc_lo, 0, v9, vcc_lo
	s_delay_alu instid0(VALU_DEP_3) | instskip(SKIP_1) | instid1(VALU_DEP_2)
	v_cmp_ne_u32_e32 vcc_lo, 0, v10
	s_wait_alu 0xfffd
	v_cndmask_b32_e32 v8, v14, v12, vcc_lo
	v_cndmask_b32_e32 v10, v13, v11, vcc_lo
	v_cmp_ne_u32_e32 vcc_lo, 0, v7
	s_wait_alu 0xfffd
	s_delay_alu instid0(VALU_DEP_2)
	v_dual_cndmask_b32 v53, v9, v8 :: v_dual_cndmask_b32 v52, v4, v10
.LBB0_4:                                ;   in Loop: Header=BB0_2 Depth=1
	s_wait_alu 0xfffe
	s_and_not1_saveexec_b32 s2, s26
	s_cbranch_execz .LBB0_6
; %bb.5:                                ;   in Loop: Header=BB0_2 Depth=1
	v_cvt_f32_u32_e32 v4, s24
	s_sub_co_i32 s26, 0, s24
	v_mov_b32_e32 v53, v3
	s_delay_alu instid0(VALU_DEP_2) | instskip(NEXT) | instid1(TRANS32_DEP_1)
	v_rcp_iflag_f32_e32 v4, v4
	v_mul_f32_e32 v4, 0x4f7ffffe, v4
	s_delay_alu instid0(VALU_DEP_1) | instskip(SKIP_1) | instid1(VALU_DEP_1)
	v_cvt_u32_f32_e32 v4, v4
	s_wait_alu 0xfffe
	v_mul_lo_u32 v7, s26, v4
	s_delay_alu instid0(VALU_DEP_1) | instskip(NEXT) | instid1(VALU_DEP_1)
	v_mul_hi_u32 v7, v4, v7
	v_add_nc_u32_e32 v4, v4, v7
	s_delay_alu instid0(VALU_DEP_1) | instskip(NEXT) | instid1(VALU_DEP_1)
	v_mul_hi_u32 v4, v5, v4
	v_mul_lo_u32 v7, v4, s24
	v_add_nc_u32_e32 v8, 1, v4
	s_delay_alu instid0(VALU_DEP_2) | instskip(NEXT) | instid1(VALU_DEP_1)
	v_sub_nc_u32_e32 v7, v5, v7
	v_subrev_nc_u32_e32 v9, s24, v7
	v_cmp_le_u32_e32 vcc_lo, s24, v7
	s_wait_alu 0xfffd
	s_delay_alu instid0(VALU_DEP_2) | instskip(NEXT) | instid1(VALU_DEP_1)
	v_dual_cndmask_b32 v7, v7, v9 :: v_dual_cndmask_b32 v4, v4, v8
	v_cmp_le_u32_e32 vcc_lo, s24, v7
	s_delay_alu instid0(VALU_DEP_2) | instskip(SKIP_1) | instid1(VALU_DEP_1)
	v_add_nc_u32_e32 v8, 1, v4
	s_wait_alu 0xfffd
	v_cndmask_b32_e32 v52, v4, v8, vcc_lo
.LBB0_6:                                ;   in Loop: Header=BB0_2 Depth=1
	s_wait_alu 0xfffe
	s_or_b32 exec_lo, exec_lo, s2
	v_mul_lo_u32 v4, v53, s24
	s_delay_alu instid0(VALU_DEP_2)
	v_mul_lo_u32 v9, v52, s25
	s_load_b64 s[26:27], s[18:19], 0x0
	v_mad_co_u64_u32 v[7:8], null, v52, s24, 0
	s_load_b64 s[24:25], s[16:17], 0x0
	s_add_nc_u64 s[20:21], s[20:21], 1
	s_add_nc_u64 s[16:17], s[16:17], 8
	s_wait_alu 0xfffe
	v_cmp_ge_u64_e64 s2, s[20:21], s[10:11]
	s_add_nc_u64 s[18:19], s[18:19], 8
	s_add_nc_u64 s[22:23], s[22:23], 8
	v_add3_u32 v4, v8, v9, v4
	v_sub_co_u32 v5, vcc_lo, v5, v7
	s_wait_alu 0xfffd
	s_delay_alu instid0(VALU_DEP_2) | instskip(SKIP_2) | instid1(VALU_DEP_1)
	v_sub_co_ci_u32_e32 v4, vcc_lo, v6, v4, vcc_lo
	s_and_b32 vcc_lo, exec_lo, s2
	s_wait_kmcnt 0x0
	v_mul_lo_u32 v6, s26, v4
	v_mul_lo_u32 v7, s27, v5
	v_mad_co_u64_u32 v[1:2], null, s26, v5, v[1:2]
	v_mul_lo_u32 v4, s24, v4
	v_mul_lo_u32 v8, s25, v5
	v_mad_co_u64_u32 v[48:49], null, s24, v5, v[48:49]
	s_delay_alu instid0(VALU_DEP_4) | instskip(NEXT) | instid1(VALU_DEP_2)
	v_add3_u32 v2, v7, v2, v6
	v_add3_u32 v49, v8, v49, v4
	s_wait_alu 0xfffe
	s_cbranch_vccnz .LBB0_9
; %bb.7:                                ;   in Loop: Header=BB0_2 Depth=1
	v_dual_mov_b32 v5, v52 :: v_dual_mov_b32 v6, v53
	s_branch .LBB0_2
.LBB0_8:
	v_dual_mov_b32 v49, v2 :: v_dual_mov_b32 v48, v1
	v_dual_mov_b32 v53, v6 :: v_dual_mov_b32 v52, v5
.LBB0_9:
	s_load_b64 s[0:1], s[0:1], 0x28
	v_mul_hi_u32 v3, 0x1b4e81c, v0
	s_lshl_b64 s[10:11], s[10:11], 3
                                        ; implicit-def: $vgpr50
                                        ; implicit-def: $vgpr54
                                        ; implicit-def: $vgpr57
                                        ; implicit-def: $vgpr56
	s_wait_kmcnt 0x0
	v_cmp_gt_u64_e32 vcc_lo, s[0:1], v[52:53]
	v_cmp_le_u64_e64 s0, s[0:1], v[52:53]
	s_delay_alu instid0(VALU_DEP_1)
	s_and_saveexec_b32 s1, s0
	s_wait_alu 0xfffe
	s_xor_b32 s0, exec_lo, s1
; %bb.10:
	v_mul_u32_u24_e32 v1, 0x96, v3
                                        ; implicit-def: $vgpr3
	s_delay_alu instid0(VALU_DEP_1) | instskip(NEXT) | instid1(VALU_DEP_1)
	v_sub_nc_u32_e32 v50, v0, v1
                                        ; implicit-def: $vgpr0
                                        ; implicit-def: $vgpr1_vgpr2
	v_add_nc_u32_e32 v54, 0x96, v50
	v_add_nc_u32_e32 v57, 0x12c, v50
	;; [unrolled: 1-line block ×3, first 2 shown]
; %bb.11:
	s_wait_alu 0xfffe
	s_or_saveexec_b32 s1, s0
	s_add_nc_u64 s[2:3], s[14:15], s[10:11]
	s_wait_alu 0xfffe
	s_xor_b32 exec_lo, exec_lo, s1
	s_cbranch_execz .LBB0_13
; %bb.12:
	s_add_nc_u64 s[10:11], s[12:13], s[10:11]
	v_lshlrev_b64_e32 v[1:2], 4, v[1:2]
	s_load_b64 s[10:11], s[10:11], 0x0
	s_wait_kmcnt 0x0
	v_mul_lo_u32 v6, s11, v52
	v_mul_lo_u32 v7, s10, v53
	v_mad_co_u64_u32 v[4:5], null, s10, v52, 0
	s_delay_alu instid0(VALU_DEP_1) | instskip(SKIP_1) | instid1(VALU_DEP_2)
	v_add3_u32 v5, v5, v7, v6
	v_mul_u32_u24_e32 v6, 0x96, v3
	v_lshlrev_b64_e32 v[3:4], 4, v[4:5]
	s_delay_alu instid0(VALU_DEP_2) | instskip(NEXT) | instid1(VALU_DEP_1)
	v_sub_nc_u32_e32 v50, v0, v6
	v_lshlrev_b32_e32 v40, 4, v50
	s_delay_alu instid0(VALU_DEP_3) | instskip(SKIP_1) | instid1(VALU_DEP_4)
	v_add_co_u32 v0, s0, s4, v3
	s_wait_alu 0xf1ff
	v_add_co_ci_u32_e64 v3, s0, s5, v4, s0
	v_add_nc_u32_e32 v54, 0x96, v50
	s_delay_alu instid0(VALU_DEP_3) | instskip(SKIP_1) | instid1(VALU_DEP_3)
	v_add_co_u32 v0, s0, v0, v1
	s_wait_alu 0xf1ff
	v_add_co_ci_u32_e64 v1, s0, v3, v2, s0
	v_add_nc_u32_e32 v57, 0x12c, v50
	s_delay_alu instid0(VALU_DEP_3) | instskip(SKIP_1) | instid1(VALU_DEP_3)
	v_add_co_u32 v36, s0, v0, v40
	s_wait_alu 0xf1ff
	v_add_co_ci_u32_e64 v37, s0, 0, v1, s0
	s_clause 0x9
	global_load_b128 v[0:3], v[36:37], off
	global_load_b128 v[4:7], v[36:37], off offset:2400
	global_load_b128 v[8:11], v[36:37], off offset:4800
	;; [unrolled: 1-line block ×9, first 2 shown]
	v_add_nc_u32_e32 v40, 0, v40
	v_add_nc_u32_e32 v56, 0x1c2, v50
	s_wait_loadcnt 0x9
	ds_store_b128 v40, v[0:3]
	s_wait_loadcnt 0x8
	ds_store_b128 v40, v[4:7] offset:2400
	s_wait_loadcnt 0x7
	ds_store_b128 v40, v[8:11] offset:4800
	;; [unrolled: 2-line block ×9, first 2 shown]
.LBB0_13:
	s_or_b32 exec_lo, exec_lo, s1
	v_lshl_add_u32 v60, v50, 4, 0
	s_load_b64 s[2:3], s[2:3], 0x0
	global_wb scope:SCOPE_SE
	s_wait_dscnt 0x0
	s_wait_kmcnt 0x0
	s_barrier_signal -1
	s_barrier_wait -1
	global_inv scope:SCOPE_SE
	ds_load_b128 v[0:3], v60
	ds_load_b128 v[4:7], v60 offset:4800
	ds_load_b128 v[8:11], v60 offset:9600
	;; [unrolled: 1-line block ×9, first 2 shown]
	s_mov_b32 s10, 0x134454ff
	s_mov_b32 s11, 0xbfee6f0e
	;; [unrolled: 1-line block ×3, first 2 shown]
	s_wait_alu 0xfffe
	s_mov_b32 s0, s10
	s_mov_b32 s12, 0x4755a5e
	s_mov_b32 s13, 0xbfe2cf23
	s_mov_b32 s5, 0x3fe2cf23
	s_mov_b32 s4, s12
	s_mov_b32 s14, 0x372fe950
	s_mov_b32 s15, 0x3fd3c6ef
	global_wb scope:SCOPE_SE
	s_wait_dscnt 0x0
	v_add_f64_e32 v[40:41], v[0:1], v[4:5]
	v_add_f64_e32 v[42:43], v[2:3], v[6:7]
	;; [unrolled: 1-line block ×12, first 2 shown]
	v_add_f64_e64 v[75:76], v[4:5], -v[8:9]
	v_add_f64_e64 v[77:78], v[16:17], -v[12:13]
	;; [unrolled: 1-line block ×11, first 2 shown]
	s_barrier_signal -1
	s_barrier_wait -1
	global_inv scope:SCOPE_SE
	s_mov_b32 s16, 0x9b97f4a8
	s_mov_b32 s17, 0x3fe9e377
	;; [unrolled: 1-line block ×6, first 2 shown]
	v_add_f64_e32 v[8:9], v[40:41], v[8:9]
	v_add_f64_e32 v[10:11], v[42:43], v[10:11]
	v_add_f64_e64 v[40:41], v[14:15], -v[18:19]
	v_fma_f64 v[44:45], v[44:45], -0.5, v[0:1]
	v_fma_f64 v[0:1], v[46:47], -0.5, v[0:1]
	;; [unrolled: 1-line block ×3, first 2 shown]
	v_add_f64_e64 v[42:43], v[22:23], -v[34:35]
	v_fma_f64 v[2:3], v[61:62], -0.5, v[2:3]
	v_add_f64_e64 v[58:59], v[20:21], -v[24:25]
	v_fma_f64 v[63:64], v[63:64], -0.5, v[36:37]
	v_fma_f64 v[36:37], v[65:66], -0.5, v[36:37]
	v_fma_f64 v[65:66], v[67:68], -0.5, v[38:39]
	v_fma_f64 v[38:39], v[69:70], -0.5, v[38:39]
	v_add_f64_e64 v[67:68], v[22:23], -v[26:27]
	v_add_f64_e64 v[22:23], v[26:27], -v[22:23]
	;; [unrolled: 1-line block ×3, first 2 shown]
	v_add_f64_e32 v[26:27], v[73:74], v[26:27]
	v_add_f64_e64 v[73:74], v[32:33], -v[28:29]
	v_add_f64_e64 v[61:62], v[24:25], -v[20:21]
	;; [unrolled: 1-line block ×3, first 2 shown]
	v_add_f64_e32 v[71:72], v[71:72], v[24:25]
	v_add_f64_e32 v[75:76], v[75:76], v[77:78]
	v_add_f64_e64 v[77:78], v[28:29], -v[32:33]
	v_add_f64_e64 v[24:25], v[24:25], -v[28:29]
	v_add_f64_e32 v[79:80], v[79:80], v[81:82]
	v_add_f64_e64 v[81:82], v[34:35], -v[30:31]
	v_add_f64_e32 v[89:90], v[89:90], v[91:92]
	;; [unrolled: 2-line block ×3, first 2 shown]
	v_add_f64_e32 v[40:41], v[6:7], v[40:41]
	v_add_f64_e32 v[6:7], v[8:9], v[12:13]
	v_fma_f64 v[8:9], v[83:84], s[10:11], v[44:45]
	s_wait_alu 0xfffe
	v_fma_f64 v[12:13], v[83:84], s[0:1], v[44:45]
	v_fma_f64 v[14:15], v[4:5], s[0:1], v[46:47]
	;; [unrolled: 1-line block ×5, first 2 shown]
	v_add_f64_e32 v[26:27], v[26:27], v[30:31]
	v_add_f64_e32 v[58:59], v[58:59], v[73:74]
	v_fma_f64 v[73:74], v[87:88], s[10:11], v[2:3]
	v_fma_f64 v[2:3], v[87:88], s[0:1], v[2:3]
	v_add_f64_e32 v[28:29], v[71:72], v[28:29]
	v_fma_f64 v[71:72], v[42:43], s[10:11], v[63:64]
	v_add_f64_e32 v[61:62], v[61:62], v[77:78]
	v_fma_f64 v[63:64], v[42:43], s[0:1], v[63:64]
	v_fma_f64 v[77:78], v[69:70], s[0:1], v[36:37]
	v_fma_f64 v[30:31], v[20:21], s[0:1], v[65:66]
	v_add_f64_e32 v[67:68], v[67:68], v[81:82]
	v_fma_f64 v[81:82], v[24:25], s[10:11], v[38:39]
	v_fma_f64 v[36:37], v[69:70], s[10:11], v[36:37]
	;; [unrolled: 1-line block ×4, first 2 shown]
	v_add_f64_e32 v[91:92], v[22:23], v[91:92]
	v_fma_f64 v[22:23], v[85:86], s[12:13], v[8:9]
	v_fma_f64 v[85:86], v[85:86], s[4:5], v[12:13]
	;; [unrolled: 1-line block ×8, first 2 shown]
	v_and_b32_e32 v2, 0xff, v50
	v_fma_f64 v[71:72], v[69:70], s[12:13], v[71:72]
	v_add_f64_e32 v[3:4], v[6:7], v[16:17]
	v_fma_f64 v[63:64], v[69:70], s[4:5], v[63:64]
	v_fma_f64 v[69:70], v[42:43], s[12:13], v[77:78]
	;; [unrolled: 1-line block ×3, first 2 shown]
	v_add_f64_e32 v[5:6], v[10:11], v[18:19]
	v_fma_f64 v[81:82], v[20:21], s[4:5], v[81:82]
	v_fma_f64 v[42:43], v[42:43], s[4:5], v[36:37]
	;; [unrolled: 1-line block ×4, first 2 shown]
	v_mul_lo_u16 v51, 0xcd, v2
	v_add_f64_e32 v[9:10], v[26:27], v[34:35]
	v_add_f64_e32 v[7:8], v[28:29], v[32:33]
	v_mul_lo_u16 v2, v2, 41
	v_fma_f64 v[11:12], v[75:76], s[14:15], v[22:23]
	v_fma_f64 v[15:16], v[75:76], s[14:15], v[85:86]
	v_fma_f64 v[13:14], v[89:90], s[14:15], v[13:14]
	v_fma_f64 v[19:20], v[79:80], s[14:15], v[44:45]
	v_fma_f64 v[23:24], v[79:80], s[14:15], v[0:1]
	v_fma_f64 v[17:18], v[89:90], s[14:15], v[46:47]
	v_lshrrev_b16 v0, 10, v51
	v_lshl_add_u32 v44, v50, 6, v60
	v_mad_i32_i24 v51, 0x50, v54, 0
	s_delay_alu instid0(VALU_DEP_3) | instskip(SKIP_3) | instid1(VALU_DEP_4)
	v_mul_lo_u16 v1, v0, 5
	v_and_b32_e32 v0, 0xffff, v0
	v_fma_f64 v[21:22], v[40:41], s[14:15], v[73:74]
	v_fma_f64 v[25:26], v[40:41], s[14:15], v[83:84]
	v_sub_nc_u16 v1, v50, v1
	v_fma_f64 v[27:28], v[58:59], s[14:15], v[71:72]
	v_mul_u32_u24_e32 v0, 0x320, v0
	v_fma_f64 v[31:32], v[58:59], s[14:15], v[63:64]
	v_fma_f64 v[35:36], v[61:62], s[14:15], v[69:70]
	;; [unrolled: 1-line block ×3, first 2 shown]
	v_and_b32_e32 v1, 0xff, v1
	v_fma_f64 v[37:38], v[91:92], s[14:15], v[81:82]
	v_fma_f64 v[39:40], v[61:62], s[14:15], v[42:43]
	;; [unrolled: 1-line block ×4, first 2 shown]
	v_mul_u32_u24_e32 v43, 9, v1
	v_lshl_add_u32 v61, v56, 4, 0
	v_lshl_add_u32 v62, v57, 4, 0
	v_lshlrev_b32_e32 v1, 4, v1
	ds_store_b128 v44, v[3:6]
	ds_store_b128 v44, v[11:14] offset:16
	ds_store_b128 v44, v[19:22] offset:32
	ds_store_b128 v44, v[23:26] offset:48
	ds_store_b128 v44, v[15:18] offset:64
	ds_store_b128 v51, v[7:10]
	ds_store_b128 v51, v[27:30] offset:16
	ds_store_b128 v51, v[35:38] offset:32
	;; [unrolled: 1-line block ×4, first 2 shown]
	v_lshlrev_b32_e32 v43, 4, v43
	global_wb scope:SCOPE_SE
	s_wait_dscnt 0x0
	s_barrier_signal -1
	s_barrier_wait -1
	global_inv scope:SCOPE_SE
	s_clause 0x8
	global_load_b128 v[6:9], v43, s[8:9]
	global_load_b128 v[10:13], v43, s[8:9] offset:16
	global_load_b128 v[14:17], v43, s[8:9] offset:48
	global_load_b128 v[18:21], v43, s[8:9] offset:80
	global_load_b128 v[22:25], v43, s[8:9] offset:112
	global_load_b128 v[26:29], v43, s[8:9] offset:32
	global_load_b128 v[30:33], v43, s[8:9] offset:64
	global_load_b128 v[34:37], v43, s[8:9] offset:96
	global_load_b128 v[38:41], v43, s[8:9] offset:128
	v_lshlrev_b32_e32 v4, 6, v54
	v_add3_u32 v0, 0, v0, v1
	s_delay_alu instid0(VALU_DEP_2)
	v_sub_nc_u32_e32 v5, v51, v4
	ds_load_b128 v[42:45], v5
	ds_load_b128 v[63:66], v61
	;; [unrolled: 1-line block ×3, first 2 shown]
	ds_load_b128 v[71:74], v60 offset:9600
	ds_load_b128 v[75:78], v60 offset:21600
	ds_load_b128 v[79:82], v60
	ds_load_b128 v[83:86], v60 offset:14400
	s_wait_loadcnt_dscnt 0x806
	v_mul_f64_e32 v[46:47], v[44:45], v[8:9]
	v_mul_f64_e32 v[8:9], v[42:43], v[8:9]
	s_wait_loadcnt_dscnt 0x704
	v_mul_f64_e32 v[58:59], v[69:70], v[12:13]
	v_mul_f64_e32 v[12:13], v[67:68], v[12:13]
	;; [unrolled: 3-line block ×3, first 2 shown]
	v_fma_f64 v[42:43], v[42:43], v[6:7], v[46:47]
	s_wait_loadcnt_dscnt 0x500
	v_mul_f64_e32 v[46:47], v[85:86], v[20:21]
	v_mul_f64_e32 v[20:21], v[83:84], v[20:21]
	v_fma_f64 v[44:45], v[44:45], v[6:7], -v[8:9]
	ds_load_b128 v[6:9], v60 offset:12000
	v_fma_f64 v[58:59], v[67:68], v[10:11], v[58:59]
	v_fma_f64 v[67:68], v[69:70], v[10:11], -v[12:13]
	ds_load_b128 v[10:13], v60 offset:19200
	v_fma_f64 v[69:70], v[71:72], v[14:15], v[87:88]
	v_fma_f64 v[71:72], v[73:74], v[14:15], -v[16:17]
	ds_load_b128 v[14:17], v60 offset:16800
	s_wait_loadcnt 0x3
	v_mul_f64_e32 v[87:88], v[65:66], v[28:29]
	v_mul_f64_e32 v[28:29], v[63:64], v[28:29]
	global_wb scope:SCOPE_SE
	s_wait_loadcnt_dscnt 0x0
	s_barrier_signal -1
	s_barrier_wait -1
	global_inv scope:SCOPE_SE
	v_mul_f64_e32 v[73:74], v[12:13], v[24:25]
	v_mul_f64_e32 v[24:25], v[10:11], v[24:25]
	v_fma_f64 v[46:47], v[83:84], v[18:19], v[46:47]
	v_fma_f64 v[18:19], v[85:86], v[18:19], -v[20:21]
	v_mul_f64_e32 v[20:21], v[8:9], v[32:33]
	v_mul_f64_e32 v[83:84], v[16:17], v[36:37]
	;; [unrolled: 1-line block ×3, first 2 shown]
	v_add_f64_e32 v[91:92], v[79:80], v[58:59]
	v_fma_f64 v[10:11], v[10:11], v[22:23], v[73:74]
	v_fma_f64 v[12:13], v[12:13], v[22:23], -v[24:25]
	v_mul_f64_e32 v[22:23], v[6:7], v[32:33]
	v_mul_f64_e32 v[24:25], v[14:15], v[36:37]
	;; [unrolled: 1-line block ×3, first 2 shown]
	v_fma_f64 v[36:37], v[63:64], v[26:27], v[87:88]
	v_fma_f64 v[26:27], v[65:66], v[26:27], -v[28:29]
	v_add_f64_e64 v[40:41], v[69:70], -v[58:59]
	v_add_f64_e64 v[65:66], v[67:68], -v[71:72]
	v_add_f64_e32 v[28:29], v[71:72], v[18:19]
	v_fma_f64 v[6:7], v[6:7], v[30:31], v[20:21]
	v_fma_f64 v[14:15], v[14:15], v[34:35], v[83:84]
	;; [unrolled: 1-line block ×3, first 2 shown]
	v_add_f64_e64 v[75:76], v[71:72], -v[67:68]
	v_add_f64_e32 v[91:92], v[91:92], v[69:70]
	v_add_f64_e64 v[63:64], v[46:47], -v[10:11]
	v_add_f64_e64 v[73:74], v[12:13], -v[18:19]
	v_fma_f64 v[8:9], v[8:9], v[30:31], -v[22:23]
	v_fma_f64 v[16:17], v[16:17], v[34:35], -v[24:25]
	v_add_f64_e32 v[22:23], v[69:70], v[46:47]
	v_add_f64_e32 v[24:25], v[58:59], v[10:11]
	;; [unrolled: 1-line block ×3, first 2 shown]
	v_fma_f64 v[32:33], v[77:78], v[38:39], -v[32:33]
	v_add_f64_e64 v[34:35], v[58:59], -v[69:70]
	v_add_f64_e64 v[38:39], v[10:11], -v[46:47]
	;; [unrolled: 1-line block ×5, first 2 shown]
	v_fma_f64 v[28:29], v[28:29], -0.5, v[81:82]
	v_add_f64_e64 v[83:84], v[36:37], -v[6:7]
	v_add_f64_e32 v[87:88], v[6:7], v[14:15]
	v_add_f64_e64 v[85:86], v[20:21], -v[14:15]
	v_add_f64_e32 v[89:90], v[36:37], v[20:21]
	v_add_f64_e32 v[46:47], v[91:92], v[46:47]
	;; [unrolled: 1-line block ×4, first 2 shown]
	v_add_f64_e64 v[63:64], v[26:27], -v[8:9]
	v_fma_f64 v[22:23], v[22:23], -0.5, v[79:80]
	v_fma_f64 v[24:25], v[24:25], -0.5, v[79:80]
	;; [unrolled: 1-line block ×3, first 2 shown]
	v_add_f64_e32 v[79:80], v[81:82], v[67:68]
	v_add_f64_e64 v[81:82], v[6:7], -v[36:37]
	v_add_f64_e32 v[34:35], v[34:35], v[38:39]
	v_add_f64_e64 v[38:39], v[14:15], -v[20:21]
	v_add_f64_e64 v[73:74], v[32:33], -v[16:17]
	v_add_f64_e32 v[75:76], v[75:76], v[77:78]
	v_add_f64_e32 v[77:78], v[8:9], v[16:17]
	v_add_f64_e64 v[67:68], v[67:68], -v[12:13]
	v_fma_f64 v[87:88], v[87:88], -0.5, v[42:43]
	v_add_f64_e32 v[83:84], v[83:84], v[85:86]
	v_add_f64_e32 v[85:86], v[26:27], v[32:33]
	v_fma_f64 v[89:90], v[89:90], -0.5, v[42:43]
	v_add_f64_e32 v[42:43], v[42:43], v[36:37]
	v_add_f64_e64 v[36:37], v[36:37], -v[20:21]
	v_add_f64_e32 v[46:47], v[46:47], v[10:11]
	v_add_f64_e32 v[79:80], v[79:80], v[71:72]
	v_add_f64_e64 v[71:72], v[71:72], -v[18:19]
	v_add_f64_e32 v[38:39], v[81:82], v[38:39]
	v_add_f64_e64 v[81:82], v[8:9], -v[26:27]
	;; [unrolled: 2-line block ×3, first 2 shown]
	v_fma_f64 v[77:78], v[77:78], -0.5, v[44:45]
	v_fma_f64 v[85:86], v[85:86], -0.5, v[44:45]
	v_add_f64_e32 v[44:45], v[44:45], v[26:27]
	v_add_f64_e32 v[42:43], v[42:43], v[6:7]
	v_add_f64_e64 v[6:7], v[6:7], -v[14:15]
	v_add_f64_e64 v[26:27], v[26:27], -v[32:33]
	v_add_f64_e32 v[18:19], v[79:80], v[18:19]
	v_add_f64_e32 v[73:74], v[81:82], v[73:74]
	v_fma_f64 v[81:82], v[36:37], s[0:1], v[77:78]
	v_fma_f64 v[77:78], v[36:37], s[10:11], v[77:78]
	v_add_f64_e32 v[44:45], v[44:45], v[8:9]
	v_add_f64_e64 v[8:9], v[8:9], -v[16:17]
	v_fma_f64 v[91:92], v[6:7], s[10:11], v[85:86]
	v_fma_f64 v[85:86], v[6:7], s[0:1], v[85:86]
	v_add_f64_e32 v[14:15], v[42:43], v[14:15]
	v_add_f64_e32 v[18:19], v[18:19], v[12:13]
	v_fma_f64 v[81:82], v[6:7], s[4:5], v[81:82]
	v_fma_f64 v[6:7], v[6:7], s[12:13], v[77:78]
	v_fma_f64 v[77:78], v[26:27], s[10:11], v[87:88]
	v_fma_f64 v[87:88], v[26:27], s[0:1], v[87:88]
	v_add_f64_e32 v[16:17], v[44:45], v[16:17]
	v_fma_f64 v[91:92], v[36:37], s[4:5], v[91:92]
	v_fma_f64 v[36:37], v[36:37], s[12:13], v[85:86]
	v_fma_f64 v[85:86], v[8:9], s[0:1], v[89:90]
	v_fma_f64 v[89:90], v[8:9], s[10:11], v[89:90]
	v_add_f64_e32 v[12:13], v[14:15], v[20:21]
	v_fma_f64 v[81:82], v[63:64], s[14:15], v[81:82]
	v_fma_f64 v[6:7], v[63:64], s[14:15], v[6:7]
	v_fma_f64 v[77:78], v[8:9], s[12:13], v[77:78]
	v_fma_f64 v[8:9], v[8:9], s[4:5], v[87:88]
	v_fma_f64 v[87:88], v[67:68], s[10:11], v[22:23]
	v_fma_f64 v[63:64], v[58:59], s[0:1], v[28:29]
	;; [unrolled: 1-line block ×12, first 2 shown]
	v_add_f64_e32 v[14:15], v[16:17], v[32:33]
	v_mul_f64_e32 v[79:80], s[16:17], v[81:82]
	v_fma_f64 v[8:9], v[83:84], s[14:15], v[8:9]
	v_fma_f64 v[42:43], v[71:72], s[12:13], v[87:88]
	;; [unrolled: 1-line block ×8, first 2 shown]
	v_mul_f64_e32 v[38:39], s[12:13], v[81:82]
	v_fma_f64 v[67:68], v[58:59], s[4:5], v[73:74]
	v_fma_f64 v[30:31], v[58:59], s[12:13], v[30:31]
	;; [unrolled: 1-line block ×4, first 2 shown]
	v_mul_f64_e32 v[71:72], s[10:11], v[91:92]
	v_mul_f64_e32 v[81:82], s[14:15], v[91:92]
	v_mul_f64_e32 v[73:74], s[10:11], v[36:37]
	v_mul_f64_e32 v[77:78], s[12:13], v[6:7]
	v_mul_f64_e32 v[36:37], s[18:19], v[36:37]
	v_mul_f64_e32 v[6:7], s[20:21], v[6:7]
	v_add_f64_e32 v[10:11], v[18:19], v[14:15]
	v_add_f64_e64 v[14:15], v[18:19], -v[14:15]
	v_fma_f64 v[32:33], v[34:35], s[14:15], v[42:43]
	v_fma_f64 v[63:64], v[65:66], s[14:15], v[63:64]
	;; [unrolled: 1-line block ×16, first 2 shown]
	v_add_f64_e32 v[8:9], v[46:47], v[12:13]
	v_add_f64_e64 v[12:13], v[46:47], -v[12:13]
	v_lshrrev_b16 v6, 11, v2
	s_delay_alu instid0(VALU_DEP_1) | instskip(SKIP_1) | instid1(VALU_DEP_2)
	v_mul_lo_u16 v2, v6, 50
	v_and_b32_e32 v6, 0xffff, v6
	v_sub_nc_u16 v2, v50, v2
	s_delay_alu instid0(VALU_DEP_2) | instskip(NEXT) | instid1(VALU_DEP_2)
	v_mul_u32_u24_e32 v6, 0x1f40, v6
	v_and_b32_e32 v7, 0xff, v2
	s_delay_alu instid0(VALU_DEP_1) | instskip(SKIP_1) | instid1(VALU_DEP_2)
	v_mul_u32_u24_e32 v2, 9, v7
	v_lshlrev_b32_e32 v7, 4, v7
	v_lshlrev_b32_e32 v55, 4, v2
	s_delay_alu instid0(VALU_DEP_2)
	v_add3_u32 v6, 0, v6, v7
	v_add_f64_e32 v[16:17], v[32:33], v[38:39]
	v_add_f64_e32 v[18:19], v[63:64], v[58:59]
	;; [unrolled: 1-line block ×5, first 2 shown]
	v_add_f64_e64 v[32:33], v[32:33], -v[38:39]
	v_add_f64_e32 v[26:27], v[75:76], v[77:78]
	v_add_f64_e32 v[28:29], v[34:35], v[73:74]
	;; [unrolled: 1-line block ×3, first 2 shown]
	v_add_f64_e64 v[36:37], v[42:43], -v[44:45]
	v_add_f64_e64 v[44:45], v[34:35], -v[73:74]
	;; [unrolled: 1-line block ×7, first 2 shown]
	ds_store_b128 v0, v[8:11]
	ds_store_b128 v0, v[16:19] offset:80
	ds_store_b128 v0, v[20:23] offset:160
	;; [unrolled: 1-line block ×9, first 2 shown]
	global_wb scope:SCOPE_SE
	s_wait_dscnt 0x0
	s_barrier_signal -1
	s_barrier_wait -1
	global_inv scope:SCOPE_SE
	s_clause 0x8
	global_load_b128 v[0:3], v55, s[8:9] offset:736
	global_load_b128 v[8:11], v55, s[8:9] offset:768
	;; [unrolled: 1-line block ×9, first 2 shown]
	ds_load_b128 v[40:43], v62
	ds_load_b128 v[44:47], v60 offset:9600
	ds_load_b128 v[63:66], v60 offset:14400
	;; [unrolled: 1-line block ×4, first 2 shown]
	ds_load_b128 v[71:74], v60
	ds_load_b128 v[75:78], v60 offset:12000
	v_sub_nc_u32_e32 v55, 0, v4
	s_wait_loadcnt_dscnt 0x806
	v_mul_f64_e32 v[58:59], v[42:43], v[2:3]
	v_mul_f64_e32 v[2:3], v[40:41], v[2:3]
	s_wait_loadcnt_dscnt 0x705
	v_mul_f64_e32 v[83:84], v[46:47], v[10:11]
	s_wait_loadcnt_dscnt 0x604
	v_mul_f64_e32 v[85:86], v[65:66], v[14:15]
	v_mul_f64_e32 v[14:15], v[63:64], v[14:15]
	;; [unrolled: 1-line block ×3, first 2 shown]
	v_fma_f64 v[58:59], v[40:41], v[0:1], v[58:59]
	v_fma_f64 v[87:88], v[42:43], v[0:1], -v[2:3]
	ds_load_b128 v[0:3], v61
	ds_load_b128 v[40:43], v60 offset:16800
	v_fma_f64 v[44:45], v[44:45], v[8:9], v[83:84]
	s_wait_loadcnt_dscnt 0x504
	v_mul_f64_e32 v[83:84], v[81:82], v[18:19]
	v_mul_f64_e32 v[18:19], v[79:80], v[18:19]
	v_fma_f64 v[63:64], v[63:64], v[12:13], v[85:86]
	v_fma_f64 v[12:13], v[65:66], v[12:13], -v[14:15]
	v_fma_f64 v[46:47], v[46:47], v[8:9], -v[10:11]
	ds_load_b128 v[8:11], v5
	s_wait_loadcnt_dscnt 0x303
	v_mul_f64_e32 v[65:66], v[77:78], v[26:27]
	global_wb scope:SCOPE_SE
	s_wait_loadcnt_dscnt 0x0
	s_barrier_signal -1
	s_barrier_wait -1
	global_inv scope:SCOPE_SE
	v_mul_f64_e32 v[14:15], v[2:3], v[22:23]
	v_mul_f64_e32 v[22:23], v[0:1], v[22:23]
	;; [unrolled: 1-line block ×4, first 2 shown]
	v_fma_f64 v[79:80], v[79:80], v[16:17], v[83:84]
	v_fma_f64 v[16:17], v[81:82], v[16:17], -v[18:19]
	v_mul_f64_e32 v[18:19], v[75:76], v[26:27]
	v_mul_f64_e32 v[26:27], v[69:70], v[34:35]
	;; [unrolled: 1-line block ×3, first 2 shown]
	v_fma_f64 v[0:1], v[0:1], v[20:21], v[14:15]
	v_mul_f64_e32 v[14:15], v[10:11], v[38:39]
	v_fma_f64 v[2:3], v[2:3], v[20:21], -v[22:23]
	v_mul_f64_e32 v[20:21], v[8:9], v[38:39]
	v_fma_f64 v[22:23], v[75:76], v[24:25], v[65:66]
	v_fma_f64 v[38:39], v[40:41], v[28:29], v[85:86]
	v_add_f64_e32 v[40:41], v[46:47], v[12:13]
	v_add_f64_e64 v[75:76], v[87:88], -v[46:47]
	v_add_f64_e64 v[65:66], v[79:80], -v[63:64]
	;; [unrolled: 1-line block ×3, first 2 shown]
	v_fma_f64 v[18:19], v[77:78], v[24:25], -v[18:19]
	v_fma_f64 v[24:25], v[67:68], v[32:33], v[26:27]
	v_fma_f64 v[26:27], v[42:43], v[28:29], -v[30:31]
	v_add_f64_e32 v[28:29], v[44:45], v[63:64]
	v_add_f64_e32 v[30:31], v[58:59], v[79:80]
	;; [unrolled: 1-line block ×3, first 2 shown]
	v_fma_f64 v[32:33], v[69:70], v[32:33], -v[34:35]
	v_add_f64_e64 v[34:35], v[58:59], -v[44:45]
	v_add_f64_e64 v[67:68], v[44:45], -v[58:59]
	;; [unrolled: 1-line block ×4, first 2 shown]
	v_fma_f64 v[8:9], v[8:9], v[36:37], v[14:15]
	v_add_f64_e32 v[14:15], v[71:72], v[58:59]
	v_fma_f64 v[10:11], v[10:11], v[36:37], -v[20:21]
	v_add_f64_e32 v[20:21], v[73:74], v[87:88]
	v_add_f64_e64 v[36:37], v[46:47], -v[87:88]
	v_add_f64_e32 v[83:84], v[22:23], v[38:39]
	v_add_f64_e64 v[85:86], v[0:1], -v[22:23]
	v_fma_f64 v[40:41], v[40:41], -0.5, v[73:74]
	v_add_f64_e64 v[87:88], v[87:88], -v[16:17]
	v_add_f64_e64 v[58:59], v[58:59], -v[79:80]
	;; [unrolled: 1-line block ×3, first 2 shown]
	v_add_f64_e32 v[91:92], v[0:1], v[24:25]
	v_fma_f64 v[28:29], v[28:29], -0.5, v[71:72]
	v_fma_f64 v[30:31], v[30:31], -0.5, v[71:72]
	;; [unrolled: 1-line block ×3, first 2 shown]
	v_add_f64_e64 v[71:72], v[22:23], -v[0:1]
	v_add_f64_e64 v[73:74], v[38:39], -v[24:25]
	v_add_f64_e32 v[34:35], v[34:35], v[65:66]
	v_add_f64_e32 v[65:66], v[18:19], v[26:27]
	;; [unrolled: 1-line block ×6, first 2 shown]
	v_add_f64_e64 v[0:1], v[0:1], -v[24:25]
	v_add_f64_e32 v[14:15], v[14:15], v[44:45]
	v_add_f64_e64 v[44:45], v[44:45], -v[63:64]
	v_add_f64_e32 v[36:37], v[36:37], v[81:82]
	v_add_f64_e32 v[81:82], v[10:11], v[2:3]
	v_fma_f64 v[83:84], v[83:84], -0.5, v[8:9]
	v_add_f64_e32 v[20:21], v[20:21], v[46:47]
	v_add_f64_e64 v[46:47], v[46:47], -v[12:13]
	v_add_f64_e32 v[85:86], v[85:86], v[89:90]
	v_add_f64_e64 v[89:90], v[2:3], -v[18:19]
	v_fma_f64 v[8:9], v[91:92], -0.5, v[8:9]
	v_add_f64_e64 v[91:92], v[32:33], -v[26:27]
	v_add_f64_e32 v[71:72], v[71:72], v[73:74]
	v_add_f64_e64 v[73:74], v[18:19], -v[2:3]
	v_fma_f64 v[65:66], v[65:66], -0.5, v[10:11]
	v_add_f64_e64 v[2:3], v[2:3], -v[32:33]
	v_fma_f64 v[10:11], v[69:70], -0.5, v[10:11]
	v_add_f64_e64 v[69:70], v[26:27], -v[32:33]
	v_add_f64_e32 v[77:78], v[77:78], v[22:23]
	v_add_f64_e64 v[22:23], v[22:23], -v[38:39]
	v_add_f64_e32 v[14:15], v[14:15], v[63:64]
	v_add_f64_e32 v[81:82], v[81:82], v[18:19]
	v_add_f64_e64 v[18:19], v[18:19], -v[26:27]
	v_add_f64_e32 v[12:13], v[20:21], v[12:13]
	v_add_f64_e32 v[89:90], v[89:90], v[91:92]
	v_fma_f64 v[91:92], v[0:1], s[0:1], v[65:66]
	v_fma_f64 v[65:66], v[0:1], s[10:11], v[65:66]
	v_add_f64_e32 v[69:70], v[73:74], v[69:70]
	v_add_f64_e32 v[20:21], v[77:78], v[38:39]
	v_fma_f64 v[73:74], v[22:23], s[10:11], v[10:11]
	v_fma_f64 v[10:11], v[22:23], s[0:1], v[10:11]
	v_add_f64_e32 v[14:15], v[14:15], v[79:80]
	v_add_f64_e32 v[26:27], v[81:82], v[26:27]
	;; [unrolled: 1-line block ×3, first 2 shown]
	v_fma_f64 v[91:92], v[22:23], s[4:5], v[91:92]
	v_fma_f64 v[22:23], v[22:23], s[12:13], v[65:66]
	;; [unrolled: 1-line block ×4, first 2 shown]
	v_add_f64_e32 v[12:13], v[20:21], v[24:25]
	v_fma_f64 v[73:74], v[0:1], s[4:5], v[73:74]
	v_fma_f64 v[0:1], v[0:1], s[12:13], v[10:11]
	;; [unrolled: 1-line block ×4, first 2 shown]
	v_add_f64_e32 v[20:21], v[26:27], v[32:33]
	v_fma_f64 v[91:92], v[89:90], s[14:15], v[91:92]
	v_fma_f64 v[22:23], v[89:90], s[14:15], v[22:23]
	;; [unrolled: 1-line block ×16, first 2 shown]
	v_mul_f64_e32 v[63:64], s[12:13], v[91:92]
	v_mul_f64_e32 v[77:78], s[16:17], v[91:92]
	v_fma_f64 v[18:19], v[85:86], s[14:15], v[18:19]
	v_fma_f64 v[38:39], v[46:47], s[12:13], v[83:84]
	;; [unrolled: 1-line block ×11, first 2 shown]
	v_mul_f64_e32 v[65:66], s[10:11], v[73:74]
	v_mul_f64_e32 v[69:70], s[10:11], v[0:1]
	;; [unrolled: 1-line block ×3, first 2 shown]
	v_fma_f64 v[30:31], v[87:88], s[4:5], v[30:31]
	v_mul_f64_e32 v[0:1], s[18:19], v[0:1]
	v_mul_f64_e32 v[71:72], s[12:13], v[22:23]
	v_mul_f64_e32 v[22:23], s[20:21], v[22:23]
	v_fma_f64 v[32:33], v[34:35], s[14:15], v[38:39]
	v_fma_f64 v[34:35], v[34:35], s[14:15], v[28:29]
	;; [unrolled: 1-line block ×9, first 2 shown]
	v_add_f64_e32 v[8:9], v[14:15], v[12:13]
	v_fma_f64 v[40:41], v[10:11], s[14:15], v[65:66]
	v_fma_f64 v[63:64], v[2:3], s[18:19], v[69:70]
	;; [unrolled: 1-line block ×7, first 2 shown]
	v_add_f64_e32 v[10:11], v[16:17], v[20:21]
	v_add_f64_e64 v[12:13], v[14:15], -v[12:13]
	v_add_f64_e64 v[14:15], v[16:17], -v[20:21]
	v_cmp_gt_u32_e64 s0, 50, v50
	v_add_f64_e32 v[16:17], v[32:33], v[36:37]
	v_add_f64_e32 v[18:19], v[46:47], v[58:59]
	v_add_f64_e64 v[32:33], v[32:33], -v[36:37]
	v_add_f64_e32 v[20:21], v[38:39], v[40:41]
	v_add_f64_e64 v[36:37], v[38:39], -v[40:41]
	v_add_f64_e32 v[22:23], v[44:45], v[69:70]
	v_add_f64_e32 v[24:25], v[67:68], v[63:64]
	;; [unrolled: 1-line block ×5, first 2 shown]
	v_add_f64_e64 v[0:1], v[34:35], -v[65:66]
	v_add_f64_e64 v[34:35], v[46:47], -v[58:59]
	;; [unrolled: 1-line block ×6, first 2 shown]
	ds_store_b128 v6, v[8:11]
	ds_store_b128 v6, v[16:19] offset:800
	ds_store_b128 v6, v[20:23] offset:1600
	;; [unrolled: 1-line block ×9, first 2 shown]
	global_wb scope:SCOPE_SE
	s_wait_dscnt 0x0
	s_barrier_signal -1
	s_barrier_wait -1
	global_inv scope:SCOPE_SE
	ds_load_b128 v[16:19], v60
	ds_load_b128 v[44:47], v60 offset:8000
	ds_load_b128 v[12:15], v5
	ds_load_b128 v[36:39], v60 offset:16000
	ds_load_b128 v[24:27], v60 offset:18400
	;; [unrolled: 1-line block ×4, first 2 shown]
	ds_load_b128 v[20:23], v62
	ds_load_b128 v[32:35], v60 offset:20800
                                        ; implicit-def: $vgpr10_vgpr11
                                        ; implicit-def: $vgpr6_vgpr7
	s_and_saveexec_b32 s1, s0
	s_cbranch_execz .LBB0_15
; %bb.14:
	ds_load_b128 v[0:3], v61
	ds_load_b128 v[4:7], v60 offset:15200
	ds_load_b128 v[8:11], v60 offset:23200
.LBB0_15:
	s_wait_alu 0xfffe
	s_or_b32 exec_lo, exec_lo, s1
	v_dual_mov_b32 v59, 0 :: v_dual_lshlrev_b32 v58, 1, v50
	s_mov_b32 s4, 0xe8584caa
	s_mov_b32 s5, 0xbfebb67a
	;; [unrolled: 1-line block ×3, first 2 shown]
	s_wait_alu 0xfffe
	s_mov_b32 s10, s4
	v_lshlrev_b64_e32 v[63:64], 4, v[58:59]
	v_lshlrev_b32_e32 v58, 1, v54
	s_delay_alu instid0(VALU_DEP_1) | instskip(NEXT) | instid1(VALU_DEP_3)
	v_lshlrev_b64_e32 v[71:72], 4, v[58:59]
	v_add_co_u32 v67, s1, s8, v63
	s_wait_alu 0xf1ff
	s_delay_alu instid0(VALU_DEP_4) | instskip(SKIP_1) | instid1(VALU_DEP_4)
	v_add_co_ci_u32_e64 v68, s1, s9, v64, s1
	v_lshlrev_b32_e32 v58, 1, v57
	v_add_co_u32 v75, s1, s8, v71
	global_load_b128 v[63:66], v[67:68], off offset:7920
	s_wait_alu 0xf1ff
	v_add_co_ci_u32_e64 v76, s1, s9, v72, s1
	v_lshlrev_b64_e32 v[73:74], 4, v[58:59]
	global_load_b128 v[67:70], v[67:68], off offset:7936
	v_add_co_u32 v83, s1, s8, v73
	s_wait_alu 0xf1ff
	v_add_co_ci_u32_e64 v84, s1, s9, v74, s1
	s_clause 0x3
	global_load_b128 v[71:74], v[75:76], off offset:7920
	global_load_b128 v[75:78], v[75:76], off offset:7936
	;; [unrolled: 1-line block ×4, first 2 shown]
	global_wb scope:SCOPE_SE
	s_wait_loadcnt_dscnt 0x0
	s_barrier_signal -1
	s_barrier_wait -1
	global_inv scope:SCOPE_SE
	v_mul_f64_e32 v[87:88], v[46:47], v[65:66]
	v_mul_f64_e32 v[65:66], v[44:45], v[65:66]
	;; [unrolled: 1-line block ×10, first 2 shown]
	v_fma_f64 v[44:45], v[44:45], v[63:64], v[87:88]
	v_fma_f64 v[46:47], v[46:47], v[63:64], -v[65:66]
	v_mul_f64_e32 v[63:64], v[28:29], v[81:82]
	v_mul_f64_e32 v[65:66], v[32:33], v[85:86]
	v_fma_f64 v[36:37], v[36:37], v[67:68], v[89:90]
	v_fma_f64 v[38:39], v[38:39], v[67:68], -v[69:70]
	v_fma_f64 v[40:41], v[40:41], v[71:72], v[91:92]
	v_fma_f64 v[42:43], v[42:43], v[71:72], -v[73:74]
	;; [unrolled: 2-line block ×3, first 2 shown]
	v_fma_f64 v[28:29], v[28:29], v[79:80], v[95:96]
	v_fma_f64 v[32:33], v[32:33], v[83:84], v[97:98]
	v_add_f64_e32 v[75:76], v[16:17], v[44:45]
	v_fma_f64 v[30:31], v[30:31], v[79:80], -v[63:64]
	v_fma_f64 v[34:35], v[34:35], v[83:84], -v[65:66]
	v_add_f64_e32 v[63:64], v[44:45], v[36:37]
	v_add_f64_e32 v[65:66], v[46:47], v[38:39]
	v_add_f64_e64 v[77:78], v[46:47], -v[38:39]
	v_add_f64_e32 v[46:47], v[18:19], v[46:47]
	v_add_f64_e64 v[44:45], v[44:45], -v[36:37]
	v_add_f64_e32 v[79:80], v[12:13], v[40:41]
	v_add_f64_e32 v[81:82], v[14:15], v[42:43]
	;; [unrolled: 1-line block ×6, first 2 shown]
	v_add_f64_e64 v[42:43], v[42:43], -v[26:27]
	v_add_f64_e64 v[89:90], v[28:29], -v[32:33]
	v_add_f64_e32 v[85:86], v[22:23], v[30:31]
	v_add_f64_e32 v[73:74], v[30:31], v[34:35]
	v_fma_f64 v[63:64], v[63:64], -0.5, v[16:17]
	v_fma_f64 v[65:66], v[65:66], -0.5, v[18:19]
	v_add_f64_e64 v[87:88], v[30:31], -v[34:35]
	v_add_f64_e32 v[17:18], v[46:47], v[38:39]
	v_fma_f64 v[12:13], v[67:68], -0.5, v[12:13]
	v_add_f64_e64 v[67:68], v[40:41], -v[24:25]
	v_fma_f64 v[69:70], v[69:70], -0.5, v[14:15]
	v_fma_f64 v[71:72], v[71:72], -0.5, v[20:21]
	v_add_f64_e32 v[15:16], v[75:76], v[36:37]
	v_add_f64_e32 v[19:20], v[79:80], v[24:25]
	v_add_nc_u32_e32 v14, v51, v55
	v_fma_f64 v[73:74], v[73:74], -0.5, v[22:23]
	v_add_f64_e32 v[21:22], v[81:82], v[26:27]
	v_fma_f64 v[27:28], v[77:78], s[4:5], v[63:64]
	s_wait_alu 0xfffe
	v_fma_f64 v[29:30], v[44:45], s[10:11], v[65:66]
	v_add_f64_e32 v[23:24], v[83:84], v[32:33]
	v_add_f64_e32 v[25:26], v[85:86], v[34:35]
	v_fma_f64 v[31:32], v[77:78], s[10:11], v[63:64]
	v_fma_f64 v[33:34], v[44:45], s[4:5], v[65:66]
	;; [unrolled: 1-line block ×10, first 2 shown]
	ds_store_b128 v60, v[15:18]
	ds_store_b128 v60, v[27:30] offset:8000
	ds_store_b128 v60, v[31:34] offset:16000
	ds_store_b128 v14, v[19:22]
	ds_store_b128 v14, v[35:38] offset:8000
	ds_store_b128 v14, v[39:42] offset:16000
	;; [unrolled: 3-line block ×3, first 2 shown]
	s_and_saveexec_b32 s1, s0
	s_cbranch_execz .LBB0_17
; %bb.16:
	v_subrev_nc_u32_e32 v12, 50, v50
	s_delay_alu instid0(VALU_DEP_1) | instskip(NEXT) | instid1(VALU_DEP_1)
	v_cndmask_b32_e64 v12, v12, v56, s0
	v_lshlrev_b32_e32 v58, 1, v12
	s_delay_alu instid0(VALU_DEP_1) | instskip(NEXT) | instid1(VALU_DEP_1)
	v_lshlrev_b64_e32 v[12:13], 4, v[58:59]
	v_add_co_u32 v12, s0, s8, v12
	s_wait_alu 0xf1ff
	s_delay_alu instid0(VALU_DEP_2)
	v_add_co_ci_u32_e64 v13, s0, s9, v13, s0
	s_clause 0x1
	global_load_b128 v[15:18], v[12:13], off offset:7920
	global_load_b128 v[19:22], v[12:13], off offset:7936
	s_wait_loadcnt 0x1
	v_mul_f64_e32 v[12:13], v[4:5], v[17:18]
	s_wait_loadcnt 0x0
	v_mul_f64_e32 v[23:24], v[8:9], v[21:22]
	v_mul_f64_e32 v[17:18], v[6:7], v[17:18]
	;; [unrolled: 1-line block ×3, first 2 shown]
	s_delay_alu instid0(VALU_DEP_4) | instskip(NEXT) | instid1(VALU_DEP_4)
	v_fma_f64 v[6:7], v[6:7], v[15:16], -v[12:13]
	v_fma_f64 v[10:11], v[10:11], v[19:20], -v[23:24]
	s_delay_alu instid0(VALU_DEP_4) | instskip(NEXT) | instid1(VALU_DEP_4)
	v_fma_f64 v[4:5], v[4:5], v[15:16], v[17:18]
	v_fma_f64 v[8:9], v[8:9], v[19:20], v[21:22]
	s_delay_alu instid0(VALU_DEP_4) | instskip(NEXT) | instid1(VALU_DEP_4)
	v_add_f64_e32 v[19:20], v[2:3], v[6:7]
	v_add_f64_e32 v[12:13], v[6:7], v[10:11]
	v_add_f64_e64 v[21:22], v[6:7], -v[10:11]
	s_delay_alu instid0(VALU_DEP_4)
	v_add_f64_e32 v[15:16], v[4:5], v[8:9]
	v_add_f64_e64 v[17:18], v[4:5], -v[8:9]
	v_add_f64_e32 v[4:5], v[0:1], v[4:5]
	v_fma_f64 v[12:13], v[12:13], -0.5, v[2:3]
	v_add_f64_e32 v[2:3], v[19:20], v[10:11]
	v_fma_f64 v[15:16], v[15:16], -0.5, v[0:1]
	s_delay_alu instid0(VALU_DEP_4) | instskip(NEXT) | instid1(VALU_DEP_4)
	v_add_f64_e32 v[0:1], v[4:5], v[8:9]
	v_fma_f64 v[10:11], v[17:18], s[10:11], v[12:13]
	v_fma_f64 v[6:7], v[17:18], s[4:5], v[12:13]
	s_delay_alu instid0(VALU_DEP_4)
	v_fma_f64 v[8:9], v[21:22], s[4:5], v[15:16]
	v_fma_f64 v[4:5], v[21:22], s[10:11], v[15:16]
	ds_store_b128 v60, v[0:3] offset:7200
	ds_store_b128 v60, v[8:11] offset:15200
	;; [unrolled: 1-line block ×3, first 2 shown]
.LBB0_17:
	s_wait_alu 0xfffe
	s_or_b32 exec_lo, exec_lo, s1
	global_wb scope:SCOPE_SE
	s_wait_dscnt 0x0
	s_barrier_signal -1
	s_barrier_wait -1
	global_inv scope:SCOPE_SE
	ds_load_b128 v[4:7], v60
	v_lshlrev_b32_e32 v0, 4, v50
	s_mov_b32 s1, exec_lo
                                        ; implicit-def: $vgpr10_vgpr11
                                        ; implicit-def: $vgpr12_vgpr13
                                        ; implicit-def: $vgpr8_vgpr9
	s_delay_alu instid0(VALU_DEP_1)
	v_sub_nc_u32_e32 v15, 0, v0
                                        ; implicit-def: $vgpr0_vgpr1
	v_cmpx_ne_u32_e32 0, v50
	s_wait_alu 0xfffe
	s_xor_b32 s1, exec_lo, s1
	s_cbranch_execz .LBB0_19
; %bb.18:
	v_mov_b32_e32 v51, 0
	s_delay_alu instid0(VALU_DEP_1) | instskip(NEXT) | instid1(VALU_DEP_1)
	v_lshlrev_b64_e32 v[0:1], 4, v[50:51]
	v_add_co_u32 v0, s0, s8, v0
	s_wait_alu 0xf1ff
	s_delay_alu instid0(VALU_DEP_2)
	v_add_co_ci_u32_e64 v1, s0, s9, v1, s0
	global_load_b128 v[8:11], v[0:1], off offset:23920
	ds_load_b128 v[0:3], v15 offset:24000
	s_wait_dscnt 0x0
	v_add_f64_e64 v[12:13], v[4:5], -v[0:1]
	v_add_f64_e32 v[16:17], v[6:7], v[2:3]
	v_add_f64_e64 v[2:3], v[6:7], -v[2:3]
	v_add_f64_e32 v[0:1], v[4:5], v[0:1]
	s_delay_alu instid0(VALU_DEP_4) | instskip(NEXT) | instid1(VALU_DEP_4)
	v_mul_f64_e32 v[6:7], 0.5, v[12:13]
	v_mul_f64_e32 v[4:5], 0.5, v[16:17]
	s_delay_alu instid0(VALU_DEP_4) | instskip(SKIP_1) | instid1(VALU_DEP_3)
	v_mul_f64_e32 v[2:3], 0.5, v[2:3]
	s_wait_loadcnt 0x0
	v_mul_f64_e32 v[12:13], v[6:7], v[10:11]
	s_delay_alu instid0(VALU_DEP_2) | instskip(SKIP_1) | instid1(VALU_DEP_3)
	v_fma_f64 v[16:17], v[4:5], v[10:11], v[2:3]
	v_fma_f64 v[2:3], v[4:5], v[10:11], -v[2:3]
	v_fma_f64 v[18:19], v[0:1], 0.5, v[12:13]
	v_fma_f64 v[0:1], v[0:1], 0.5, -v[12:13]
	s_delay_alu instid0(VALU_DEP_4) | instskip(NEXT) | instid1(VALU_DEP_4)
	v_fma_f64 v[12:13], -v[8:9], v[6:7], v[16:17]
	v_fma_f64 v[2:3], -v[8:9], v[6:7], v[2:3]
	s_delay_alu instid0(VALU_DEP_4) | instskip(NEXT) | instid1(VALU_DEP_4)
	v_fma_f64 v[10:11], v[4:5], v[8:9], v[18:19]
	v_fma_f64 v[0:1], -v[4:5], v[8:9], v[0:1]
	v_dual_mov_b32 v8, v50 :: v_dual_mov_b32 v9, v51
                                        ; implicit-def: $vgpr4_vgpr5
.LBB0_19:
	s_wait_alu 0xfffe
	s_and_not1_saveexec_b32 s0, s1
	s_cbranch_execz .LBB0_21
; %bb.20:
	s_wait_dscnt 0x0
	v_add_f64_e32 v[10:11], v[4:5], v[6:7]
	v_add_f64_e64 v[0:1], v[4:5], -v[6:7]
	v_mov_b32_e32 v6, 0
	v_mov_b32_e32 v12, 0
	v_dual_mov_b32 v13, 0 :: v_dual_mov_b32 v8, 0
	s_delay_alu instid0(VALU_DEP_2)
	v_mov_b32_e32 v2, v12
	ds_load_b64 v[4:5], v6 offset:12008
	v_mov_b32_e32 v9, 0
	v_mov_b32_e32 v3, v13
	s_wait_dscnt 0x0
	v_xor_b32_e32 v5, 0x80000000, v5
	ds_store_b64 v6, v[4:5] offset:12008
.LBB0_21:
	s_wait_alu 0xfffe
	s_or_b32 exec_lo, exec_lo, s0
	v_mov_b32_e32 v55, 0
	v_lshlrev_b64_e32 v[8:9], 4, v[8:9]
	s_wait_dscnt 0x0
	s_delay_alu instid0(VALU_DEP_2) | instskip(SKIP_1) | instid1(VALU_DEP_1)
	v_lshlrev_b64_e32 v[4:5], 4, v[54:55]
	v_mov_b32_e32 v58, v55
	v_lshlrev_b64_e32 v[16:17], 4, v[57:58]
	v_mov_b32_e32 v57, v55
	s_delay_alu instid0(VALU_DEP_4) | instskip(SKIP_2) | instid1(VALU_DEP_4)
	v_add_co_u32 v4, s0, s8, v4
	s_wait_alu 0xf1ff
	v_add_co_ci_u32_e64 v5, s0, s9, v5, s0
	v_add_co_u32 v16, s0, s8, v16
	s_wait_alu 0xf1ff
	v_add_co_ci_u32_e64 v17, s0, s9, v17, s0
	s_clause 0x1
	global_load_b128 v[4:7], v[4:5], off offset:23920
	global_load_b128 v[16:19], v[16:17], off offset:23920
	ds_store_2addr_b64 v60, v[10:11], v[12:13] offset1:1
	ds_store_b128 v15, v[0:3] offset:24000
	ds_load_b128 v[0:3], v14
	ds_load_b128 v[10:13], v15 offset:21600
	s_wait_dscnt 0x0
	v_add_f64_e64 v[20:21], v[0:1], -v[10:11]
	v_add_f64_e32 v[22:23], v[2:3], v[12:13]
	v_add_f64_e64 v[2:3], v[2:3], -v[12:13]
	v_add_f64_e32 v[0:1], v[0:1], v[10:11]
	s_delay_alu instid0(VALU_DEP_4) | instskip(NEXT) | instid1(VALU_DEP_4)
	v_mul_f64_e32 v[12:13], 0.5, v[20:21]
	v_mul_f64_e32 v[20:21], 0.5, v[22:23]
	s_delay_alu instid0(VALU_DEP_4) | instskip(SKIP_1) | instid1(VALU_DEP_3)
	v_mul_f64_e32 v[2:3], 0.5, v[2:3]
	s_wait_loadcnt 0x1
	v_mul_f64_e32 v[10:11], v[12:13], v[6:7]
	s_delay_alu instid0(VALU_DEP_2) | instskip(SKIP_1) | instid1(VALU_DEP_3)
	v_fma_f64 v[22:23], v[20:21], v[6:7], v[2:3]
	v_fma_f64 v[2:3], v[20:21], v[6:7], -v[2:3]
	v_fma_f64 v[6:7], v[0:1], 0.5, v[10:11]
	v_fma_f64 v[0:1], v[0:1], 0.5, -v[10:11]
	s_delay_alu instid0(VALU_DEP_4) | instskip(NEXT) | instid1(VALU_DEP_4)
	v_fma_f64 v[10:11], -v[4:5], v[12:13], v[22:23]
	v_fma_f64 v[12:13], -v[4:5], v[12:13], v[2:3]
	s_delay_alu instid0(VALU_DEP_4) | instskip(NEXT) | instid1(VALU_DEP_4)
	v_fma_f64 v[6:7], v[20:21], v[4:5], v[6:7]
	v_fma_f64 v[4:5], -v[20:21], v[4:5], v[0:1]
	v_lshlrev_b64_e32 v[0:1], 4, v[56:57]
	s_delay_alu instid0(VALU_DEP_1) | instskip(SKIP_1) | instid1(VALU_DEP_2)
	v_add_co_u32 v0, s0, s8, v0
	s_wait_alu 0xf1ff
	v_add_co_ci_u32_e64 v1, s0, s9, v1, s0
	s_add_nc_u64 s[0:1], s[8:9], 0x5d70
	s_wait_alu 0xfffe
	v_add_co_u32 v8, s0, s0, v8
	global_load_b128 v[0:3], v[0:1], off offset:23920
	s_wait_alu 0xf1ff
	v_add_co_ci_u32_e64 v9, s0, s1, v9, s0
	ds_store_b64 v14, v[10:11] offset:8
	ds_store_b64 v15, v[12:13] offset:21608
	ds_store_b64 v14, v[6:7]
	ds_store_b64 v15, v[4:5] offset:21600
	ds_load_b128 v[4:7], v62
	ds_load_b128 v[10:13], v15 offset:19200
	s_wait_dscnt 0x0
	v_add_f64_e64 v[20:21], v[4:5], -v[10:11]
	v_add_f64_e32 v[22:23], v[6:7], v[12:13]
	v_add_f64_e64 v[6:7], v[6:7], -v[12:13]
	v_add_f64_e32 v[4:5], v[4:5], v[10:11]
	s_delay_alu instid0(VALU_DEP_4) | instskip(NEXT) | instid1(VALU_DEP_4)
	v_mul_f64_e32 v[12:13], 0.5, v[20:21]
	v_mul_f64_e32 v[20:21], 0.5, v[22:23]
	s_delay_alu instid0(VALU_DEP_4) | instskip(SKIP_1) | instid1(VALU_DEP_3)
	v_mul_f64_e32 v[6:7], 0.5, v[6:7]
	s_wait_loadcnt 0x1
	v_mul_f64_e32 v[10:11], v[12:13], v[18:19]
	s_delay_alu instid0(VALU_DEP_2) | instskip(SKIP_1) | instid1(VALU_DEP_3)
	v_fma_f64 v[22:23], v[20:21], v[18:19], v[6:7]
	v_fma_f64 v[6:7], v[20:21], v[18:19], -v[6:7]
	v_fma_f64 v[18:19], v[4:5], 0.5, v[10:11]
	v_fma_f64 v[4:5], v[4:5], 0.5, -v[10:11]
	s_delay_alu instid0(VALU_DEP_4) | instskip(NEXT) | instid1(VALU_DEP_4)
	v_fma_f64 v[22:23], -v[16:17], v[12:13], v[22:23]
	v_fma_f64 v[6:7], -v[16:17], v[12:13], v[6:7]
	global_load_b128 v[8:11], v[8:9], off offset:9600
	v_fma_f64 v[12:13], v[20:21], v[16:17], v[18:19]
	v_fma_f64 v[4:5], -v[20:21], v[16:17], v[4:5]
	ds_store_2addr_b64 v62, v[12:13], v[22:23] offset1:1
	ds_store_b128 v15, v[4:7] offset:19200
	ds_load_b128 v[4:7], v61
	ds_load_b128 v[16:19], v15 offset:16800
	s_wait_dscnt 0x0
	v_add_f64_e64 v[12:13], v[4:5], -v[16:17]
	v_add_f64_e32 v[20:21], v[6:7], v[18:19]
	v_add_f64_e64 v[6:7], v[6:7], -v[18:19]
	v_add_f64_e32 v[4:5], v[4:5], v[16:17]
	s_delay_alu instid0(VALU_DEP_4) | instskip(NEXT) | instid1(VALU_DEP_4)
	v_mul_f64_e32 v[12:13], 0.5, v[12:13]
	v_mul_f64_e32 v[18:19], 0.5, v[20:21]
	s_delay_alu instid0(VALU_DEP_4) | instskip(SKIP_1) | instid1(VALU_DEP_3)
	v_mul_f64_e32 v[6:7], 0.5, v[6:7]
	s_wait_loadcnt 0x1
	v_mul_f64_e32 v[16:17], v[12:13], v[2:3]
	s_delay_alu instid0(VALU_DEP_2) | instskip(SKIP_1) | instid1(VALU_DEP_3)
	v_fma_f64 v[20:21], v[18:19], v[2:3], v[6:7]
	v_fma_f64 v[2:3], v[18:19], v[2:3], -v[6:7]
	v_fma_f64 v[6:7], v[4:5], 0.5, v[16:17]
	v_fma_f64 v[4:5], v[4:5], 0.5, -v[16:17]
	s_delay_alu instid0(VALU_DEP_4) | instskip(NEXT) | instid1(VALU_DEP_4)
	v_fma_f64 v[16:17], -v[0:1], v[12:13], v[20:21]
	v_fma_f64 v[2:3], -v[0:1], v[12:13], v[2:3]
	s_delay_alu instid0(VALU_DEP_4) | instskip(NEXT) | instid1(VALU_DEP_4)
	v_fma_f64 v[6:7], v[18:19], v[0:1], v[6:7]
	v_fma_f64 v[0:1], -v[18:19], v[0:1], v[4:5]
	ds_store_2addr_b64 v61, v[6:7], v[16:17] offset1:1
	ds_store_b128 v15, v[0:3] offset:16800
	ds_load_b128 v[0:3], v60 offset:9600
	ds_load_b128 v[4:7], v15 offset:14400
	s_wait_dscnt 0x0
	v_add_f64_e64 v[12:13], v[0:1], -v[4:5]
	v_add_f64_e32 v[16:17], v[2:3], v[6:7]
	v_add_f64_e64 v[2:3], v[2:3], -v[6:7]
	v_add_f64_e32 v[0:1], v[0:1], v[4:5]
	s_delay_alu instid0(VALU_DEP_4) | instskip(NEXT) | instid1(VALU_DEP_4)
	v_mul_f64_e32 v[6:7], 0.5, v[12:13]
	v_mul_f64_e32 v[12:13], 0.5, v[16:17]
	s_delay_alu instid0(VALU_DEP_4) | instskip(SKIP_1) | instid1(VALU_DEP_3)
	v_mul_f64_e32 v[2:3], 0.5, v[2:3]
	s_wait_loadcnt 0x0
	v_mul_f64_e32 v[4:5], v[6:7], v[10:11]
	s_delay_alu instid0(VALU_DEP_2) | instskip(SKIP_1) | instid1(VALU_DEP_3)
	v_fma_f64 v[16:17], v[12:13], v[10:11], v[2:3]
	v_fma_f64 v[2:3], v[12:13], v[10:11], -v[2:3]
	v_fma_f64 v[10:11], v[0:1], 0.5, v[4:5]
	v_fma_f64 v[0:1], v[0:1], 0.5, -v[4:5]
	s_delay_alu instid0(VALU_DEP_4) | instskip(NEXT) | instid1(VALU_DEP_4)
	v_fma_f64 v[4:5], -v[8:9], v[6:7], v[16:17]
	v_fma_f64 v[2:3], -v[8:9], v[6:7], v[2:3]
	s_delay_alu instid0(VALU_DEP_4) | instskip(NEXT) | instid1(VALU_DEP_4)
	v_fma_f64 v[6:7], v[12:13], v[8:9], v[10:11]
	v_fma_f64 v[0:1], -v[12:13], v[8:9], v[0:1]
	v_add_nc_u32_e32 v8, 0x2000, v60
	ds_store_2addr_b64 v8, v[6:7], v[4:5] offset0:176 offset1:177
	ds_store_b128 v15, v[0:3] offset:14400
	global_wb scope:SCOPE_SE
	s_wait_dscnt 0x0
	s_barrier_signal -1
	s_barrier_wait -1
	global_inv scope:SCOPE_SE
	s_and_saveexec_b32 s0, vcc_lo
	s_cbranch_execz .LBB0_24
; %bb.22:
	v_mul_lo_u32 v2, s3, v52
	v_mul_lo_u32 v3, s2, v53
	v_mad_co_u64_u32 v[0:1], null, s2, v52, 0
	v_lshl_add_u32 v28, v50, 4, 0
	v_dual_mov_b32 v51, v55 :: v_dual_add_nc_u32 v54, 0x96, v50
	v_lshlrev_b64_e32 v[10:11], 4, v[48:49]
	s_delay_alu instid0(VALU_DEP_4)
	v_add3_u32 v1, v1, v3, v2
	ds_load_b128 v[2:5], v28
	ds_load_b128 v[6:9], v28 offset:2400
	v_lshlrev_b64_e32 v[12:13], 4, v[50:51]
	v_lshlrev_b64_e32 v[14:15], 4, v[54:55]
	v_add_nc_u32_e32 v54, 0x12c, v50
	v_lshlrev_b64_e32 v[0:1], 4, v[0:1]
	s_delay_alu instid0(VALU_DEP_1) | instskip(SKIP_1) | instid1(VALU_DEP_2)
	v_add_co_u32 v0, vcc_lo, s6, v0
	s_wait_alu 0xfffd
	v_add_co_ci_u32_e32 v1, vcc_lo, s7, v1, vcc_lo
	s_delay_alu instid0(VALU_DEP_2) | instskip(SKIP_1) | instid1(VALU_DEP_2)
	v_add_co_u32 v0, vcc_lo, v0, v10
	s_wait_alu 0xfffd
	v_add_co_ci_u32_e32 v1, vcc_lo, v1, v11, vcc_lo
	s_delay_alu instid0(VALU_DEP_2) | instskip(SKIP_1) | instid1(VALU_DEP_2)
	v_add_co_u32 v10, vcc_lo, v0, v12
	s_wait_alu 0xfffd
	v_add_co_ci_u32_e32 v11, vcc_lo, v1, v13, vcc_lo
	v_add_co_u32 v12, vcc_lo, v0, v14
	s_wait_alu 0xfffd
	v_add_co_ci_u32_e32 v13, vcc_lo, v1, v15, vcc_lo
	v_lshlrev_b64_e32 v[14:15], 4, v[54:55]
	v_add_nc_u32_e32 v54, 0x1c2, v50
	s_wait_dscnt 0x1
	global_store_b128 v[10:11], v[2:5], off
	s_wait_dscnt 0x0
	global_store_b128 v[12:13], v[6:9], off
	ds_load_b128 v[2:5], v28 offset:4800
	ds_load_b128 v[6:9], v28 offset:7200
	v_add_co_u32 v20, vcc_lo, v0, v14
	v_lshlrev_b64_e32 v[18:19], 4, v[54:55]
	v_add_nc_u32_e32 v54, 0x258, v50
	s_wait_alu 0xfffd
	v_add_co_ci_u32_e32 v21, vcc_lo, v1, v15, vcc_lo
	ds_load_b128 v[10:13], v28 offset:9600
	ds_load_b128 v[14:17], v28 offset:12000
	v_lshlrev_b64_e32 v[22:23], 4, v[54:55]
	v_add_nc_u32_e32 v54, 0x2ee, v50
	v_add_co_u32 v18, vcc_lo, v0, v18
	s_wait_alu 0xfffd
	v_add_co_ci_u32_e32 v19, vcc_lo, v1, v19, vcc_lo
	s_delay_alu instid0(VALU_DEP_3) | instskip(SKIP_4) | instid1(VALU_DEP_3)
	v_lshlrev_b64_e32 v[24:25], 4, v[54:55]
	v_add_nc_u32_e32 v54, 0x384, v50
	v_add_co_u32 v22, vcc_lo, v0, v22
	s_wait_alu 0xfffd
	v_add_co_ci_u32_e32 v23, vcc_lo, v1, v23, vcc_lo
	v_lshlrev_b64_e32 v[26:27], 4, v[54:55]
	v_add_nc_u32_e32 v54, 0x41a, v50
	v_add_co_u32 v24, vcc_lo, v0, v24
	s_wait_alu 0xfffd
	v_add_co_ci_u32_e32 v25, vcc_lo, v1, v25, vcc_lo
	s_wait_dscnt 0x3
	global_store_b128 v[20:21], v[2:5], off
	s_wait_dscnt 0x2
	global_store_b128 v[18:19], v[6:9], off
	;; [unrolled: 2-line block ×4, first 2 shown]
	v_lshlrev_b64_e32 v[20:21], 4, v[54:55]
	v_add_nc_u32_e32 v54, 0x4b0, v50
	ds_load_b128 v[2:5], v28 offset:14400
	ds_load_b128 v[6:9], v28 offset:16800
	;; [unrolled: 1-line block ×4, first 2 shown]
	v_add_co_u32 v18, vcc_lo, v0, v26
	s_wait_alu 0xfffd
	v_add_co_ci_u32_e32 v19, vcc_lo, v1, v27, vcc_lo
	v_lshlrev_b64_e32 v[22:23], 4, v[54:55]
	v_add_nc_u32_e32 v54, 0x546, v50
	v_add_co_u32 v20, vcc_lo, v0, v20
	s_wait_alu 0xfffd
	v_add_co_ci_u32_e32 v21, vcc_lo, v1, v21, vcc_lo
	s_delay_alu instid0(VALU_DEP_3) | instskip(SKIP_3) | instid1(VALU_DEP_3)
	v_lshlrev_b64_e32 v[24:25], 4, v[54:55]
	v_add_co_u32 v22, vcc_lo, v0, v22
	s_wait_alu 0xfffd
	v_add_co_ci_u32_e32 v23, vcc_lo, v1, v23, vcc_lo
	v_add_co_u32 v24, vcc_lo, v0, v24
	s_wait_alu 0xfffd
	v_add_co_ci_u32_e32 v25, vcc_lo, v1, v25, vcc_lo
	v_cmp_eq_u32_e32 vcc_lo, 0x95, v50
	s_wait_dscnt 0x3
	global_store_b128 v[18:19], v[2:5], off
	s_wait_dscnt 0x2
	global_store_b128 v[20:21], v[6:9], off
	;; [unrolled: 2-line block ×4, first 2 shown]
	s_and_b32 exec_lo, exec_lo, vcc_lo
	s_cbranch_execz .LBB0_24
; %bb.23:
	v_mov_b32_e32 v2, 0
	ds_load_b128 v[2:5], v2 offset:24000
	s_wait_dscnt 0x0
	global_store_b128 v[0:1], v[2:5], off offset:24000
.LBB0_24:
	s_nop 0
	s_sendmsg sendmsg(MSG_DEALLOC_VGPRS)
	s_endpgm
	.section	.rodata,"a",@progbits
	.p2align	6, 0x0
	.amdhsa_kernel fft_rtc_back_len1500_factors_5_10_10_3_wgs_150_tpt_150_halfLds_dp_op_CI_CI_unitstride_sbrr_R2C_dirReg
		.amdhsa_group_segment_fixed_size 0
		.amdhsa_private_segment_fixed_size 0
		.amdhsa_kernarg_size 104
		.amdhsa_user_sgpr_count 2
		.amdhsa_user_sgpr_dispatch_ptr 0
		.amdhsa_user_sgpr_queue_ptr 0
		.amdhsa_user_sgpr_kernarg_segment_ptr 1
		.amdhsa_user_sgpr_dispatch_id 0
		.amdhsa_user_sgpr_private_segment_size 0
		.amdhsa_wavefront_size32 1
		.amdhsa_uses_dynamic_stack 0
		.amdhsa_enable_private_segment 0
		.amdhsa_system_sgpr_workgroup_id_x 1
		.amdhsa_system_sgpr_workgroup_id_y 0
		.amdhsa_system_sgpr_workgroup_id_z 0
		.amdhsa_system_sgpr_workgroup_info 0
		.amdhsa_system_vgpr_workitem_id 0
		.amdhsa_next_free_vgpr 99
		.amdhsa_next_free_sgpr 39
		.amdhsa_reserve_vcc 1
		.amdhsa_float_round_mode_32 0
		.amdhsa_float_round_mode_16_64 0
		.amdhsa_float_denorm_mode_32 3
		.amdhsa_float_denorm_mode_16_64 3
		.amdhsa_fp16_overflow 0
		.amdhsa_workgroup_processor_mode 1
		.amdhsa_memory_ordered 1
		.amdhsa_forward_progress 0
		.amdhsa_round_robin_scheduling 0
		.amdhsa_exception_fp_ieee_invalid_op 0
		.amdhsa_exception_fp_denorm_src 0
		.amdhsa_exception_fp_ieee_div_zero 0
		.amdhsa_exception_fp_ieee_overflow 0
		.amdhsa_exception_fp_ieee_underflow 0
		.amdhsa_exception_fp_ieee_inexact 0
		.amdhsa_exception_int_div_zero 0
	.end_amdhsa_kernel
	.text
.Lfunc_end0:
	.size	fft_rtc_back_len1500_factors_5_10_10_3_wgs_150_tpt_150_halfLds_dp_op_CI_CI_unitstride_sbrr_R2C_dirReg, .Lfunc_end0-fft_rtc_back_len1500_factors_5_10_10_3_wgs_150_tpt_150_halfLds_dp_op_CI_CI_unitstride_sbrr_R2C_dirReg
                                        ; -- End function
	.section	.AMDGPU.csdata,"",@progbits
; Kernel info:
; codeLenInByte = 9424
; NumSgprs: 41
; NumVgprs: 99
; ScratchSize: 0
; MemoryBound: 0
; FloatMode: 240
; IeeeMode: 1
; LDSByteSize: 0 bytes/workgroup (compile time only)
; SGPRBlocks: 5
; VGPRBlocks: 12
; NumSGPRsForWavesPerEU: 41
; NumVGPRsForWavesPerEU: 99
; Occupancy: 12
; WaveLimiterHint : 1
; COMPUTE_PGM_RSRC2:SCRATCH_EN: 0
; COMPUTE_PGM_RSRC2:USER_SGPR: 2
; COMPUTE_PGM_RSRC2:TRAP_HANDLER: 0
; COMPUTE_PGM_RSRC2:TGID_X_EN: 1
; COMPUTE_PGM_RSRC2:TGID_Y_EN: 0
; COMPUTE_PGM_RSRC2:TGID_Z_EN: 0
; COMPUTE_PGM_RSRC2:TIDIG_COMP_CNT: 0
	.text
	.p2alignl 7, 3214868480
	.fill 96, 4, 3214868480
	.type	__hip_cuid_c5f720832117c423,@object ; @__hip_cuid_c5f720832117c423
	.section	.bss,"aw",@nobits
	.globl	__hip_cuid_c5f720832117c423
__hip_cuid_c5f720832117c423:
	.byte	0                               ; 0x0
	.size	__hip_cuid_c5f720832117c423, 1

	.ident	"AMD clang version 19.0.0git (https://github.com/RadeonOpenCompute/llvm-project roc-6.4.0 25133 c7fe45cf4b819c5991fe208aaa96edf142730f1d)"
	.section	".note.GNU-stack","",@progbits
	.addrsig
	.addrsig_sym __hip_cuid_c5f720832117c423
	.amdgpu_metadata
---
amdhsa.kernels:
  - .args:
      - .actual_access:  read_only
        .address_space:  global
        .offset:         0
        .size:           8
        .value_kind:     global_buffer
      - .offset:         8
        .size:           8
        .value_kind:     by_value
      - .actual_access:  read_only
        .address_space:  global
        .offset:         16
        .size:           8
        .value_kind:     global_buffer
      - .actual_access:  read_only
        .address_space:  global
        .offset:         24
        .size:           8
        .value_kind:     global_buffer
      - .actual_access:  read_only
        .address_space:  global
        .offset:         32
        .size:           8
        .value_kind:     global_buffer
      - .offset:         40
        .size:           8
        .value_kind:     by_value
      - .actual_access:  read_only
        .address_space:  global
        .offset:         48
        .size:           8
        .value_kind:     global_buffer
      - .actual_access:  read_only
        .address_space:  global
        .offset:         56
        .size:           8
        .value_kind:     global_buffer
      - .offset:         64
        .size:           4
        .value_kind:     by_value
      - .actual_access:  read_only
        .address_space:  global
        .offset:         72
        .size:           8
        .value_kind:     global_buffer
      - .actual_access:  read_only
        .address_space:  global
        .offset:         80
        .size:           8
        .value_kind:     global_buffer
      - .actual_access:  read_only
        .address_space:  global
        .offset:         88
        .size:           8
        .value_kind:     global_buffer
      - .actual_access:  write_only
        .address_space:  global
        .offset:         96
        .size:           8
        .value_kind:     global_buffer
    .group_segment_fixed_size: 0
    .kernarg_segment_align: 8
    .kernarg_segment_size: 104
    .language:       OpenCL C
    .language_version:
      - 2
      - 0
    .max_flat_workgroup_size: 150
    .name:           fft_rtc_back_len1500_factors_5_10_10_3_wgs_150_tpt_150_halfLds_dp_op_CI_CI_unitstride_sbrr_R2C_dirReg
    .private_segment_fixed_size: 0
    .sgpr_count:     41
    .sgpr_spill_count: 0
    .symbol:         fft_rtc_back_len1500_factors_5_10_10_3_wgs_150_tpt_150_halfLds_dp_op_CI_CI_unitstride_sbrr_R2C_dirReg.kd
    .uniform_work_group_size: 1
    .uses_dynamic_stack: false
    .vgpr_count:     99
    .vgpr_spill_count: 0
    .wavefront_size: 32
    .workgroup_processor_mode: 1
amdhsa.target:   amdgcn-amd-amdhsa--gfx1201
amdhsa.version:
  - 1
  - 2
...

	.end_amdgpu_metadata
